;; amdgpu-corpus repo=ROCm/rocFFT kind=compiled arch=gfx1201 opt=O3
	.text
	.amdgcn_target "amdgcn-amd-amdhsa--gfx1201"
	.amdhsa_code_object_version 6
	.protected	fft_rtc_fwd_len55_factors_5_11_wgs_55_tpt_11_dim1_dp_ip_CI_unitstride_sbrr_dirReg ; -- Begin function fft_rtc_fwd_len55_factors_5_11_wgs_55_tpt_11_dim1_dp_ip_CI_unitstride_sbrr_dirReg
	.globl	fft_rtc_fwd_len55_factors_5_11_wgs_55_tpt_11_dim1_dp_ip_CI_unitstride_sbrr_dirReg
	.p2align	8
	.type	fft_rtc_fwd_len55_factors_5_11_wgs_55_tpt_11_dim1_dp_ip_CI_unitstride_sbrr_dirReg,@function
fft_rtc_fwd_len55_factors_5_11_wgs_55_tpt_11_dim1_dp_ip_CI_unitstride_sbrr_dirReg: ; @fft_rtc_fwd_len55_factors_5_11_wgs_55_tpt_11_dim1_dp_ip_CI_unitstride_sbrr_dirReg
; %bb.0:
	s_load_b128 s[4:7], s[0:1], 0x10
	v_mul_u32_u24_e32 v1, 0x1746, v0
                                        ; implicit-def: $vgpr6_vgpr7
                                        ; implicit-def: $vgpr18_vgpr19
                                        ; implicit-def: $vgpr10_vgpr11
                                        ; implicit-def: $vgpr14_vgpr15
	s_delay_alu instid0(VALU_DEP_1) | instskip(NEXT) | instid1(VALU_DEP_1)
	v_lshrrev_b32_e32 v1, 16, v1
	v_mad_co_u64_u32 v[20:21], null, ttmp9, 5, v[1:2]
	v_mul_lo_u16 v1, v1, 11
	s_delay_alu instid0(VALU_DEP_1) | instskip(SKIP_3) | instid1(VALU_DEP_1)
	v_sub_nc_u16 v0, v0, v1
	s_wait_kmcnt 0x0
	s_load_b64 s[2:3], s[4:5], 0x8
	s_load_b64 s[4:5], s[0:1], 0x48
	v_and_b32_e32 v47, 0xffff, v0
	s_delay_alu instid0(VALU_DEP_1) | instskip(NEXT) | instid1(VALU_DEP_1)
	v_dual_mov_b32 v21, 0 :: v_dual_lshlrev_b32 v46, 4, v47
	v_cmp_gt_u64_e32 vcc_lo, s[6:7], v[20:21]
	s_wait_kmcnt 0x0
	v_mad_co_u64_u32 v[2:3], null, s2, v20, 0
	s_delay_alu instid0(VALU_DEP_1) | instskip(NEXT) | instid1(VALU_DEP_1)
	v_mad_co_u64_u32 v[3:4], null, s3, v20, v[3:4]
	v_lshlrev_b64_e32 v[44:45], 4, v[2:3]
                                        ; implicit-def: $vgpr2_vgpr3
	s_and_saveexec_b32 s3, vcc_lo
; %bb.1:
	s_delay_alu instid0(VALU_DEP_1) | instskip(SKIP_1) | instid1(VALU_DEP_2)
	v_add_co_u32 v0, s2, s4, v44
	s_wait_alu 0xf1ff
	v_add_co_ci_u32_e64 v1, s2, s5, v45, s2
	s_delay_alu instid0(VALU_DEP_2) | instskip(SKIP_1) | instid1(VALU_DEP_2)
	v_add_co_u32 v0, s2, v0, v46
	s_wait_alu 0xf1ff
	v_add_co_ci_u32_e64 v1, s2, 0, v1, s2
	s_clause 0x4
	global_load_b128 v[12:15], v[0:1], off
	global_load_b128 v[8:11], v[0:1], off offset:176
	global_load_b128 v[16:19], v[0:1], off offset:352
	;; [unrolled: 1-line block ×4, first 2 shown]
; %bb.2:
	s_wait_alu 0xfffe
	s_or_b32 exec_lo, exec_lo, s3
	s_wait_loadcnt 0x1
	v_add_f64_e32 v[21:22], v[4:5], v[16:17]
	s_wait_loadcnt 0x0
	v_add_f64_e32 v[23:24], v[0:1], v[8:9]
	v_add_f64_e32 v[25:26], v[6:7], v[18:19]
	;; [unrolled: 1-line block ×4, first 2 shown]
	v_add_f64_e64 v[31:32], v[10:11], -v[2:3]
	v_add_f64_e64 v[33:34], v[18:19], -v[6:7]
	v_add_f64_e32 v[35:36], v[10:11], v[14:15]
	v_add_f64_e64 v[37:38], v[8:9], -v[0:1]
	s_mov_b32 s2, 0x134454ff
	s_mov_b32 s3, 0x3fee6f0e
	;; [unrolled: 1-line block ×3, first 2 shown]
	s_wait_alu 0xfffe
	s_mov_b32 s6, s2
	v_add_f64_e64 v[39:40], v[0:1], -v[4:5]
	v_add_f64_e64 v[41:42], v[4:5], -v[0:1]
	;; [unrolled: 1-line block ×6, first 2 shown]
	v_fma_f64 v[21:22], v[21:22], -0.5, v[12:13]
	v_fma_f64 v[12:13], v[23:24], -0.5, v[12:13]
	v_add_f64_e64 v[23:24], v[16:17], -v[4:5]
	v_fma_f64 v[25:26], v[25:26], -0.5, v[14:15]
	v_fma_f64 v[14:15], v[27:28], -0.5, v[14:15]
	v_add_f64_e64 v[27:28], v[8:9], -v[16:17]
	v_add_f64_e64 v[8:9], v[16:17], -v[8:9]
	v_add_f64_e32 v[16:17], v[16:17], v[29:30]
	v_add_f64_e32 v[18:19], v[18:19], v[35:36]
	;; [unrolled: 1-line block ×4, first 2 shown]
	v_fma_f64 v[29:30], v[31:32], s[2:3], v[21:22]
	s_wait_alu 0xfffe
	v_fma_f64 v[21:22], v[31:32], s[6:7], v[21:22]
	v_fma_f64 v[35:36], v[33:34], s[6:7], v[12:13]
	;; [unrolled: 1-line block ×7, first 2 shown]
	s_mov_b32 s2, 0x4755a5e
	s_mov_b32 s3, 0x3fe2cf23
	;; [unrolled: 1-line block ×3, first 2 shown]
	s_wait_alu 0xfffe
	s_mov_b32 s6, s2
	v_add_f64_e32 v[27:28], v[39:40], v[27:28]
	v_add_f64_e32 v[42:43], v[41:42], v[8:9]
	;; [unrolled: 1-line block ×4, first 2 shown]
	v_fma_f64 v[8:9], v[33:34], s[2:3], v[29:30]
	s_wait_alu 0xfffe
	v_fma_f64 v[16:17], v[33:34], s[6:7], v[21:22]
	v_fma_f64 v[18:19], v[31:32], s[2:3], v[35:36]
	;; [unrolled: 1-line block ×7, first 2 shown]
	s_mov_b32 s2, 0x372fe950
	s_mov_b32 s3, 0x3fd3c6ef
                                        ; implicit-def: $vgpr38_vgpr39
	v_add_f64_e32 v[0:1], v[0:1], v[4:5]
	v_add_f64_e32 v[2:3], v[2:3], v[6:7]
	s_wait_alu 0xfffe
	v_fma_f64 v[40:41], v[27:28], s[2:3], v[8:9]
	v_fma_f64 v[8:9], v[27:28], s[2:3], v[16:17]
	;; [unrolled: 1-line block ×8, first 2 shown]
	v_mul_hi_u32 v16, 0xcccccccd, v20
	v_cmp_gt_u16_e64 s2, 5, v47
                                        ; implicit-def: $vgpr34_vgpr35
                                        ; implicit-def: $vgpr30_vgpr31
                                        ; implicit-def: $vgpr26_vgpr27
                                        ; implicit-def: $vgpr22_vgpr23
	s_delay_alu instid0(VALU_DEP_2) | instskip(NEXT) | instid1(VALU_DEP_1)
	v_lshrrev_b32_e32 v16, 2, v16
	v_lshl_add_u32 v16, v16, 2, v16
	s_delay_alu instid0(VALU_DEP_1) | instskip(SKIP_1) | instid1(VALU_DEP_2)
	v_sub_nc_u32_e32 v17, v20, v16
	v_mad_u32_u24 v16, 0x50, v47, 0
	v_mul_u32_u24_e32 v17, 55, v17
	s_delay_alu instid0(VALU_DEP_1)
	v_lshl_add_u32 v18, v17, 4, v16
	ds_store_b128 v18, v[0:3]
	ds_store_b128 v18, v[40:43] offset:16
	ds_store_b128 v18, v[12:15] offset:32
	;; [unrolled: 1-line block ×4, first 2 shown]
	global_wb scope:SCOPE_SE
	s_wait_dscnt 0x0
	s_barrier_signal -1
	s_barrier_wait -1
	global_inv scope:SCOPE_SE
                                        ; implicit-def: $vgpr18_vgpr19
	s_and_saveexec_b32 s3, s2
	s_cbranch_execnz .LBB0_5
; %bb.3:
	s_wait_alu 0xfffe
	s_or_b32 exec_lo, exec_lo, s3
	s_and_b32 s2, vcc_lo, s2
	s_wait_alu 0xfffe
	s_and_saveexec_b32 s3, s2
	s_cbranch_execnz .LBB0_6
.LBB0_4:
	s_endpgm
.LBB0_5:
	v_lshlrev_b32_e32 v0, 6, v47
	v_lshlrev_b32_e32 v1, 4, v17
	s_delay_alu instid0(VALU_DEP_2) | instskip(NEXT) | instid1(VALU_DEP_2)
	v_sub_nc_u32_e32 v0, v16, v0
	v_add3_u32 v2, 0, v1, v46
	s_delay_alu instid0(VALU_DEP_2)
	v_add_nc_u32_e32 v36, v0, v1
	ds_load_b128 v[0:3], v2
	ds_load_b128 v[40:43], v36 offset:80
	ds_load_b128 v[12:15], v36 offset:160
	;; [unrolled: 1-line block ×10, first 2 shown]
	s_wait_alu 0xfffe
	s_or_b32 exec_lo, exec_lo, s3
	s_and_b32 s2, vcc_lo, s2
	s_wait_alu 0xfffe
	s_and_saveexec_b32 s3, s2
	s_cbranch_execz .LBB0_4
.LBB0_6:
	v_and_b32_e32 v48, 0xff, v47
	s_load_b64 s[0:1], s[0:1], 0x0
	s_mov_b32 s2, 0xd9c712b6
	s_mov_b32 s8, 0x8eee2c13
	;; [unrolled: 1-line block ×3, first 2 shown]
	v_mul_lo_u16 v48, 0xcd, v48
	s_mov_b32 s16, 0xbb3a28a1
	s_mov_b32 s14, 0x9bcd5057
	;; [unrolled: 1-line block ×4, first 2 shown]
	v_lshrrev_b16 v48, 10, v48
	s_mov_b32 s3, 0x3fda9628
	s_mov_b32 s9, 0xbfed1bb4
	;; [unrolled: 1-line block ×4, first 2 shown]
	v_mul_lo_u16 v48, v48, 5
	s_mov_b32 s15, 0xbfeeb42a
	s_mov_b32 s19, 0x3fd207e7
	;; [unrolled: 1-line block ×4, first 2 shown]
	v_sub_nc_u16 v47, v47, v48
	s_mov_b32 s22, s16
	s_mov_b32 s20, s18
	;; [unrolled: 1-line block ×4, first 2 shown]
	v_mul_lo_u16 v47, v47, 10
	s_wait_alu 0xfffe
	s_mov_b32 s28, s6
	s_mov_b32 s12, 0x8764f0ba
	;; [unrolled: 1-line block ×4, first 2 shown]
	v_and_b32_e32 v47, 0xfe, v47
	s_mov_b32 s25, 0xbfe14ced
	s_mov_b32 s31, 0x3fed1bb4
	;; [unrolled: 1-line block ×4, first 2 shown]
	v_lshlrev_b32_e32 v83, 4, v47
	s_mov_b32 s26, s24
	s_wait_kmcnt 0x0
	s_clause 0x9
	global_load_b128 v[47:50], v83, s[0:1]
	global_load_b128 v[51:54], v83, s[0:1] offset:16
	global_load_b128 v[55:58], v83, s[0:1] offset:144
	;; [unrolled: 1-line block ×9, first 2 shown]
	s_mov_b32 s0, 0x640f44db
	s_mov_b32 s1, 0xbfc2375f
	s_wait_loadcnt_dscnt 0x909
	v_mul_f64_e32 v[87:88], v[42:43], v[47:48]
	v_mul_f64_e32 v[42:43], v[42:43], v[49:50]
	s_wait_loadcnt_dscnt 0x808
	v_mul_f64_e32 v[89:90], v[14:15], v[51:52]
	s_wait_loadcnt_dscnt 0x605
	;; [unrolled: 2-line block ×3, first 2 shown]
	v_mul_f64_e32 v[93:94], v[22:23], v[63:64]
	v_mul_f64_e32 v[14:15], v[14:15], v[53:54]
	;; [unrolled: 1-line block ×3, first 2 shown]
	s_wait_loadcnt 0x2
	v_mul_f64_e32 v[97:98], v[6:7], v[75:76]
	s_wait_loadcnt_dscnt 0x102
	v_mul_f64_e32 v[99:100], v[30:31], v[79:80]
	v_mul_f64_e32 v[22:23], v[22:23], v[65:66]
	;; [unrolled: 1-line block ×4, first 2 shown]
	s_wait_loadcnt_dscnt 0x1
	v_mul_f64_e32 v[105:106], v[34:35], v[83:84]
	v_mul_f64_e32 v[30:31], v[30:31], v[81:82]
	;; [unrolled: 1-line block ×3, first 2 shown]
	v_fma_f64 v[49:50], v[40:41], v[49:50], v[87:88]
	s_wait_dscnt 0x0
	v_mul_f64_e32 v[87:88], v[38:39], v[55:56]
	v_fma_f64 v[40:41], v[40:41], v[47:48], -v[42:43]
	v_mul_f64_e32 v[42:43], v[10:11], v[67:68]
	v_mul_f64_e32 v[47:48], v[26:27], v[71:72]
	;; [unrolled: 1-line block ×4, first 2 shown]
	v_fma_f64 v[53:54], v[12:13], v[53:54], v[89:90]
	v_fma_f64 v[51:52], v[12:13], v[51:52], -v[14:15]
	v_fma_f64 v[12:13], v[28:29], v[81:82], v[99:100]
	v_fma_f64 v[14:15], v[28:29], v[79:80], -v[30:31]
	v_add_f64_e32 v[89:90], v[2:3], v[49:50]
	v_fma_f64 v[6:7], v[36:37], v[57:58], v[87:88]
	v_fma_f64 v[57:58], v[16:17], v[61:62], v[91:92]
	;; [unrolled: 1-line block ×3, first 2 shown]
	v_add_f64_e32 v[65:66], v[0:1], v[40:41]
	v_fma_f64 v[42:43], v[8:9], v[69:70], v[42:43]
	v_fma_f64 v[18:19], v[24:25], v[73:74], v[47:48]
	v_fma_f64 v[47:48], v[16:17], v[59:60], -v[95:96]
	v_fma_f64 v[10:11], v[36:37], v[55:56], -v[38:39]
	v_fma_f64 v[36:37], v[4:5], v[77:78], v[97:98]
	v_fma_f64 v[20:21], v[20:21], v[63:64], -v[22:23]
	v_fma_f64 v[22:23], v[8:9], v[67:68], -v[101:102]
	;; [unrolled: 1-line block ×5, first 2 shown]
	v_fma_f64 v[4:5], v[32:33], v[85:86], v[105:106]
	v_add_f64_e32 v[26:27], v[53:54], v[89:90]
	v_add_f64_e32 v[28:29], v[49:50], v[6:7]
	v_add_f64_e64 v[30:31], v[49:50], -v[6:7]
	v_add_f64_e32 v[32:33], v[57:58], v[61:62]
	v_add_f64_e32 v[34:35], v[51:52], v[65:66]
	v_add_f64_e64 v[73:74], v[57:58], -v[61:62]
	v_add_f64_e32 v[38:39], v[42:43], v[18:19]
	v_add_f64_e64 v[77:78], v[42:43], -v[18:19]
	v_add_f64_e64 v[55:56], v[40:41], -v[10:11]
	v_add_f64_e32 v[49:50], v[36:37], v[12:13]
	v_add_f64_e64 v[71:72], v[36:37], -v[12:13]
	v_add_f64_e32 v[40:41], v[40:41], v[10:11]
	v_add_f64_e64 v[63:64], v[22:23], -v[16:17]
	v_add_f64_e64 v[67:68], v[24:25], -v[14:15]
	v_add_f64_e32 v[79:80], v[22:23], v[16:17]
	v_add_f64_e32 v[65:66], v[53:54], v[4:5]
	v_add_f64_e64 v[53:54], v[53:54], -v[4:5]
	v_add_f64_e64 v[69:70], v[51:52], -v[8:9]
	v_add_f64_e32 v[51:52], v[51:52], v[8:9]
	v_add_f64_e64 v[59:60], v[47:48], -v[20:21]
	v_add_f64_e32 v[75:76], v[47:48], v[20:21]
	v_add_f64_e32 v[26:27], v[36:37], v[26:27]
	;; [unrolled: 1-line block ×3, first 2 shown]
	v_mul_f64_e32 v[81:82], s[14:15], v[28:29]
	v_mul_f64_e32 v[83:84], s[20:21], v[30:31]
	v_add_f64_e32 v[24:25], v[24:25], v[34:35]
	v_mul_f64_e32 v[85:86], s[10:11], v[28:29]
	v_mul_f64_e32 v[87:88], s[22:23], v[30:31]
	;; [unrolled: 1-line block ×4, first 2 shown]
	s_wait_alu 0xfffe
	v_mul_f64_e32 v[89:90], s[0:1], v[28:29]
	v_mul_f64_e32 v[91:92], s[28:29], v[30:31]
	;; [unrolled: 1-line block ×29, first 2 shown]
	v_add_f64_e32 v[26:27], v[42:43], v[26:27]
	v_mul_f64_e32 v[42:43], s[6:7], v[53:54]
	v_fma_f64 v[151:152], v[55:56], s[18:19], v[81:82]
	v_fma_f64 v[81:82], v[55:56], s[20:21], v[81:82]
	v_add_f64_e32 v[22:23], v[22:23], v[24:25]
	v_fma_f64 v[24:25], v[40:41], s[14:15], v[83:84]
	v_fma_f64 v[153:154], v[55:56], s[16:17], v[85:86]
	;; [unrolled: 1-line block ×7, first 2 shown]
	v_fma_f64 v[95:96], v[40:41], s[2:3], -v[95:96]
	v_fma_f64 v[87:88], v[40:41], s[10:11], -v[87:88]
	v_fma_f64 v[157:158], v[55:56], s[6:7], v[89:90]
	v_fma_f64 v[159:160], v[40:41], s[0:1], v[91:92]
	v_fma_f64 v[89:90], v[55:56], s[28:29], v[89:90]
	v_fma_f64 v[91:92], v[40:41], s[0:1], -v[91:92]
	v_mul_f64_e32 v[53:54], s[8:9], v[53:54]
	v_fma_f64 v[83:84], v[40:41], s[14:15], -v[83:84]
	v_fma_f64 v[165:166], v[55:56], s[26:27], v[28:29]
	v_fma_f64 v[28:29], v[55:56], s[24:25], v[28:29]
	;; [unrolled: 1-line block ×3, first 2 shown]
	v_fma_f64 v[30:31], v[40:41], s[12:13], -v[30:31]
	v_fma_f64 v[40:41], v[67:68], s[16:17], v[111:112]
	v_fma_f64 v[167:168], v[67:68], s[8:9], v[115:116]
	;; [unrolled: 1-line block ×13, first 2 shown]
	v_fma_f64 v[131:132], v[51:52], s[10:11], -v[131:132]
	v_add_f64_e32 v[26:27], v[57:58], v[26:27]
	v_fma_f64 v[57:58], v[67:68], s[22:23], v[111:112]
	v_fma_f64 v[111:112], v[67:68], s[26:27], v[113:114]
	v_fma_f64 v[113:114], v[67:68], s[24:25], v[113:114]
	v_add_f64_e32 v[22:23], v[47:48], v[22:23]
	v_fma_f64 v[67:68], v[69:70], s[24:25], v[119:120]
	v_fma_f64 v[119:120], v[69:70], s[26:27], v[119:120]
	;; [unrolled: 1-line block ×7, first 2 shown]
	v_add_f64_e32 v[151:152], v[2:3], v[151:152]
	v_add_f64_e32 v[24:25], v[0:1], v[24:25]
	;; [unrolled: 1-line block ×7, first 2 shown]
	v_fma_f64 v[42:43], v[51:52], s[0:1], -v[42:43]
	v_fma_f64 v[181:182], v[51:52], s[14:15], v[129:130]
	v_fma_f64 v[129:130], v[51:52], s[14:15], -v[129:130]
	v_add_f64_e32 v[81:82], v[2:3], v[81:82]
	v_add_f64_e32 v[87:88], v[0:1], v[87:88]
	;; [unrolled: 1-line block ×5, first 2 shown]
	v_fma_f64 v[127:128], v[51:52], s[12:13], -v[127:128]
	v_fma_f64 v[185:186], v[51:52], s[2:3], v[53:54]
	v_fma_f64 v[51:52], v[51:52], s[2:3], -v[53:54]
	v_add_f64_e32 v[53:54], v[0:1], v[83:84]
	v_add_f64_e32 v[159:160], v[0:1], v[159:160]
	;; [unrolled: 1-line block ×9, first 2 shown]
	v_mul_f64_e32 v[145:146], s[24:25], v[77:78]
	v_mul_f64_e32 v[147:148], s[6:7], v[77:78]
	v_mul_f64_e32 v[77:78], s[22:23], v[77:78]
	v_add_f64_e32 v[20:21], v[20:21], v[22:23]
	v_fma_f64 v[83:84], v[36:37], s[10:11], v[133:134]
	v_fma_f64 v[61:62], v[36:37], s[12:13], v[135:136]
	;; [unrolled: 1-line block ×3, first 2 shown]
	v_fma_f64 v[30:31], v[36:37], s[2:3], -v[137:138]
	v_fma_f64 v[137:138], v[36:37], s[14:15], -v[139:140]
	;; [unrolled: 1-line block ×4, first 2 shown]
	v_add_f64_e32 v[67:68], v[67:68], v[151:152]
	v_add_f64_e32 v[24:25], v[69:70], v[24:25]
	;; [unrolled: 1-line block ×7, first 2 shown]
	v_fma_f64 v[55:56], v[36:37], s[14:15], v[139:140]
	v_fma_f64 v[139:140], v[36:37], s[0:1], v[71:72]
	v_fma_f64 v[36:37], v[36:37], s[0:1], -v[71:72]
	v_add_f64_e32 v[81:82], v[119:120], v[81:82]
	v_add_f64_e32 v[42:43], v[42:43], v[87:88]
	;; [unrolled: 1-line block ×5, first 2 shown]
	v_mul_f64_e32 v[97:98], s[0:1], v[32:33]
	v_mul_f64_e32 v[34:35], s[2:3], v[32:33]
	;; [unrolled: 1-line block ×3, first 2 shown]
	v_add_f64_e32 v[53:54], v[127:128], v[53:54]
	v_add_f64_e32 v[95:96], v[181:182], v[159:160]
	;; [unrolled: 1-line block ×9, first 2 shown]
	v_mul_f64_e32 v[101:102], s[12:13], v[32:33]
	v_mul_f64_e32 v[32:33], s[14:15], v[32:33]
	;; [unrolled: 1-line block ×3, first 2 shown]
	v_add_f64_e32 v[16:17], v[16:17], v[20:21]
	v_mul_f64_e32 v[71:72], s[30:31], v[73:74]
	v_mul_f64_e32 v[69:70], s[26:27], v[73:74]
	v_fma_f64 v[173:174], v[63:64], s[8:9], v[103:104]
	v_fma_f64 v[103:104], v[63:64], s[30:31], v[103:104]
	;; [unrolled: 1-line block ×11, first 2 shown]
	v_fma_f64 v[109:110], v[79:80], s[2:3], -v[141:142]
	v_fma_f64 v[129:130], v[79:80], s[14:15], v[143:144]
	v_fma_f64 v[131:132], v[79:80], s[14:15], -v[143:144]
	v_fma_f64 v[141:142], v[79:80], s[12:13], v[145:146]
	;; [unrolled: 2-line block ×4, first 2 shown]
	v_fma_f64 v[77:78], v[79:80], s[10:11], -v[77:78]
	v_add_f64_e32 v[40:41], v[40:41], v[67:68]
	v_add_f64_e32 v[24:25], v[83:84], v[24:25]
	;; [unrolled: 1-line block ×7, first 2 shown]
	v_mul_f64_e32 v[151:152], s[22:23], v[73:74]
	v_mul_f64_e32 v[73:74], s[20:21], v[73:74]
	v_add_f64_e32 v[57:58], v[57:58], v[81:82]
	v_add_f64_e32 v[81:82], v[167:168], v[87:88]
	;; [unrolled: 1-line block ×15, first 2 shown]
	v_fma_f64 v[119:120], v[59:60], s[6:7], v[97:98]
	v_fma_f64 v[97:98], v[59:60], s[28:29], v[97:98]
	;; [unrolled: 1-line block ×13, first 2 shown]
	v_fma_f64 v[69:70], v[75:76], s[12:13], -v[69:70]
	v_fma_f64 v[18:19], v[75:76], s[0:1], -v[149:150]
	v_add_f64_e32 v[24:25], v[63:64], v[24:25]
	v_add_f64_e32 v[63:64], v[179:180], v[67:68]
	;; [unrolled: 1-line block ×6, first 2 shown]
	v_fma_f64 v[71:72], v[75:76], s[2:3], -v[71:72]
	v_fma_f64 v[99:100], v[75:76], s[10:11], v[151:152]
	v_fma_f64 v[101:102], v[75:76], s[10:11], -v[151:152]
	v_fma_f64 v[113:114], v[75:76], s[14:15], v[73:74]
	v_fma_f64 v[73:74], v[75:76], s[14:15], -v[73:74]
	v_add_f64_e32 v[75:76], v[20:21], v[81:82]
	v_add_f64_e32 v[79:80], v[26:27], v[83:84]
	v_add_f64_e32 v[81:82], v[143:144], v[30:31]
	v_add_f64_e32 v[42:43], v[131:132], v[42:43]
	v_add_f64_e32 v[57:58], v[103:104], v[57:58]
	v_add_f64_e32 v[53:54], v[109:110], v[53:54]
	v_add_f64_e32 v[40:41], v[173:174], v[40:41]
	v_add_f64_e32 v[83:84], v[141:142], v[22:23]
	v_add_f64_e32 v[51:52], v[51:52], v[87:88]
	v_add_f64_e32 v[55:56], v[145:146], v[55:56]
	v_add_f64_e32 v[87:88], v[38:39], v[2:3]
	v_add_f64_e32 v[77:78], v[77:78], v[28:29]
	v_add_f64_e32 v[85:86], v[107:108], v[89:90]
	v_add_f64_e32 v[4:5], v[4:5], v[12:13]
	v_add_f64_e32 v[89:90], v[8:9], v[14:15]
	v_add_f64_e32 v[103:104], v[157:158], v[0:1]
	v_add_f64_e32 v[0:1], v[16:17], v[24:25]
	v_add_f64_e32 v[16:17], v[32:33], v[61:62]
	v_add_f64_e32 v[22:23], v[34:35], v[67:68]
	v_add_f64_e32 v[34:35], v[93:94], v[47:48]
	v_add_f64_e32 v[32:33], v[69:70], v[65:66]
	v_add_f64_e32 v[26:27], v[36:37], v[75:76]
	v_add_f64_e32 v[30:31], v[49:50], v[79:80]
	v_add_f64_e32 v[28:29], v[101:102], v[81:82]
	v_add_f64_e32 v[20:21], v[71:72], v[42:43]
	v_add_f64_e32 v[14:15], v[97:98], v[57:58]
	v_add_f64_e32 v[12:13], v[18:19], v[53:54]
	v_add_f64_e32 v[2:3], v[119:120], v[40:41]
	v_add_f64_e32 v[18:19], v[127:128], v[63:64]
	v_add_f64_e32 v[24:25], v[99:100], v[83:84]
	v_add_f64_e32 v[38:39], v[91:92], v[51:52]
	v_add_f64_e32 v[36:37], v[111:112], v[55:56]
	v_add_f64_e32 v[42:43], v[59:60], v[87:88]
	v_add_f64_e32 v[40:41], v[73:74], v[77:78]
	v_add_f64_e32 v[49:50], v[6:7], v[4:5]
	v_add_f64_e32 v[47:48], v[10:11], v[89:90]
	v_add_f64_e32 v[8:9], v[95:96], v[85:86]
	v_add_f64_e32 v[6:7], v[113:114], v[103:104]
	v_add_co_u32 v4, vcc_lo, s4, v44
	v_add_co_ci_u32_e32 v5, vcc_lo, s5, v45, vcc_lo
	s_delay_alu instid0(VALU_DEP_2) | instskip(SKIP_1) | instid1(VALU_DEP_2)
	v_add_co_u32 v4, vcc_lo, v4, v46
	s_wait_alu 0xfffd
	v_add_co_ci_u32_e32 v5, vcc_lo, 0, v5, vcc_lo
	s_clause 0xa
	global_store_b128 v[4:5], v[32:35], off offset:160
	global_store_b128 v[4:5], v[28:31], off offset:240
	;; [unrolled: 1-line block ×9, first 2 shown]
	global_store_b128 v[4:5], v[47:50], off
	global_store_b128 v[4:5], v[6:9], off offset:800
	s_nop 0
	s_sendmsg sendmsg(MSG_DEALLOC_VGPRS)
	s_endpgm
	.section	.rodata,"a",@progbits
	.p2align	6, 0x0
	.amdhsa_kernel fft_rtc_fwd_len55_factors_5_11_wgs_55_tpt_11_dim1_dp_ip_CI_unitstride_sbrr_dirReg
		.amdhsa_group_segment_fixed_size 0
		.amdhsa_private_segment_fixed_size 0
		.amdhsa_kernarg_size 80
		.amdhsa_user_sgpr_count 2
		.amdhsa_user_sgpr_dispatch_ptr 0
		.amdhsa_user_sgpr_queue_ptr 0
		.amdhsa_user_sgpr_kernarg_segment_ptr 1
		.amdhsa_user_sgpr_dispatch_id 0
		.amdhsa_user_sgpr_private_segment_size 0
		.amdhsa_wavefront_size32 1
		.amdhsa_uses_dynamic_stack 0
		.amdhsa_enable_private_segment 0
		.amdhsa_system_sgpr_workgroup_id_x 1
		.amdhsa_system_sgpr_workgroup_id_y 0
		.amdhsa_system_sgpr_workgroup_id_z 0
		.amdhsa_system_sgpr_workgroup_info 0
		.amdhsa_system_vgpr_workitem_id 0
		.amdhsa_next_free_vgpr 187
		.amdhsa_next_free_sgpr 32
		.amdhsa_reserve_vcc 1
		.amdhsa_float_round_mode_32 0
		.amdhsa_float_round_mode_16_64 0
		.amdhsa_float_denorm_mode_32 3
		.amdhsa_float_denorm_mode_16_64 3
		.amdhsa_fp16_overflow 0
		.amdhsa_workgroup_processor_mode 1
		.amdhsa_memory_ordered 1
		.amdhsa_forward_progress 0
		.amdhsa_round_robin_scheduling 0
		.amdhsa_exception_fp_ieee_invalid_op 0
		.amdhsa_exception_fp_denorm_src 0
		.amdhsa_exception_fp_ieee_div_zero 0
		.amdhsa_exception_fp_ieee_overflow 0
		.amdhsa_exception_fp_ieee_underflow 0
		.amdhsa_exception_fp_ieee_inexact 0
		.amdhsa_exception_int_div_zero 0
	.end_amdhsa_kernel
	.text
.Lfunc_end0:
	.size	fft_rtc_fwd_len55_factors_5_11_wgs_55_tpt_11_dim1_dp_ip_CI_unitstride_sbrr_dirReg, .Lfunc_end0-fft_rtc_fwd_len55_factors_5_11_wgs_55_tpt_11_dim1_dp_ip_CI_unitstride_sbrr_dirReg
                                        ; -- End function
	.section	.AMDGPU.csdata,"",@progbits
; Kernel info:
; codeLenInByte = 3540
; NumSgprs: 34
; NumVgprs: 187
; ScratchSize: 0
; MemoryBound: 1
; FloatMode: 240
; IeeeMode: 1
; LDSByteSize: 0 bytes/workgroup (compile time only)
; SGPRBlocks: 4
; VGPRBlocks: 23
; NumSGPRsForWavesPerEU: 34
; NumVGPRsForWavesPerEU: 187
; Occupancy: 8
; WaveLimiterHint : 1
; COMPUTE_PGM_RSRC2:SCRATCH_EN: 0
; COMPUTE_PGM_RSRC2:USER_SGPR: 2
; COMPUTE_PGM_RSRC2:TRAP_HANDLER: 0
; COMPUTE_PGM_RSRC2:TGID_X_EN: 1
; COMPUTE_PGM_RSRC2:TGID_Y_EN: 0
; COMPUTE_PGM_RSRC2:TGID_Z_EN: 0
; COMPUTE_PGM_RSRC2:TIDIG_COMP_CNT: 0
	.text
	.p2alignl 7, 3214868480
	.fill 96, 4, 3214868480
	.type	__hip_cuid_6a3e49c9c054957b,@object ; @__hip_cuid_6a3e49c9c054957b
	.section	.bss,"aw",@nobits
	.globl	__hip_cuid_6a3e49c9c054957b
__hip_cuid_6a3e49c9c054957b:
	.byte	0                               ; 0x0
	.size	__hip_cuid_6a3e49c9c054957b, 1

	.ident	"AMD clang version 19.0.0git (https://github.com/RadeonOpenCompute/llvm-project roc-6.4.0 25133 c7fe45cf4b819c5991fe208aaa96edf142730f1d)"
	.section	".note.GNU-stack","",@progbits
	.addrsig
	.addrsig_sym __hip_cuid_6a3e49c9c054957b
	.amdgpu_metadata
---
amdhsa.kernels:
  - .args:
      - .actual_access:  read_only
        .address_space:  global
        .offset:         0
        .size:           8
        .value_kind:     global_buffer
      - .actual_access:  read_only
        .address_space:  global
        .offset:         8
        .size:           8
        .value_kind:     global_buffer
      - .actual_access:  read_only
        .address_space:  global
        .offset:         16
        .size:           8
        .value_kind:     global_buffer
      - .offset:         24
        .size:           8
        .value_kind:     by_value
      - .actual_access:  read_only
        .address_space:  global
        .offset:         32
        .size:           8
        .value_kind:     global_buffer
      - .actual_access:  read_only
        .address_space:  global
        .offset:         40
        .size:           8
        .value_kind:     global_buffer
      - .offset:         48
        .size:           4
        .value_kind:     by_value
      - .actual_access:  read_only
        .address_space:  global
        .offset:         56
        .size:           8
        .value_kind:     global_buffer
      - .actual_access:  read_only
        .address_space:  global
        .offset:         64
        .size:           8
        .value_kind:     global_buffer
      - .address_space:  global
        .offset:         72
        .size:           8
        .value_kind:     global_buffer
    .group_segment_fixed_size: 0
    .kernarg_segment_align: 8
    .kernarg_segment_size: 80
    .language:       OpenCL C
    .language_version:
      - 2
      - 0
    .max_flat_workgroup_size: 55
    .name:           fft_rtc_fwd_len55_factors_5_11_wgs_55_tpt_11_dim1_dp_ip_CI_unitstride_sbrr_dirReg
    .private_segment_fixed_size: 0
    .sgpr_count:     34
    .sgpr_spill_count: 0
    .symbol:         fft_rtc_fwd_len55_factors_5_11_wgs_55_tpt_11_dim1_dp_ip_CI_unitstride_sbrr_dirReg.kd
    .uniform_work_group_size: 1
    .uses_dynamic_stack: false
    .vgpr_count:     187
    .vgpr_spill_count: 0
    .wavefront_size: 32
    .workgroup_processor_mode: 1
amdhsa.target:   amdgcn-amd-amdhsa--gfx1201
amdhsa.version:
  - 1
  - 2
...

	.end_amdgpu_metadata
